;; amdgpu-corpus repo=zjin-lcf/HeCBench kind=compiled arch=gfx1100 opt=O3
	.text
	.amdgcn_target "amdgcn-amd-amdhsa--gfx1100"
	.amdhsa_code_object_version 6
	.protected	_Z10run_solverPKdPKbS0_PdPbPKjiiiij ; -- Begin function _Z10run_solverPKdPKbS0_PdPbPKjiiiij
	.globl	_Z10run_solverPKdPKbS0_PdPbPKjiiiij
	.p2align	8
	.type	_Z10run_solverPKdPKbS0_PdPbPKjiiiij,@function
_Z10run_solverPKdPKbS0_PdPbPKjiiiij:    ; @_Z10run_solverPKdPKbS0_PdPbPKjiiiij
; %bb.0:
	s_clause 0x1
	s_load_b32 s2, s[0:1], 0x48
	s_load_b32 s3, s[0:1], 0x40
	s_waitcnt lgkmcnt(0)
	s_mul_i32 s2, s2, s15
	s_delay_alu instid0(SALU_CYCLE_1) | instskip(NEXT) | instid1(SALU_CYCLE_1)
	s_add_i32 s2, s2, s14
	s_cmp_ge_u32 s2, s3
	s_cbranch_scc1 .LBB0_44
; %bb.1:
	s_load_b256 s[4:11], s[0:1], 0x20
	s_mov_b32 s3, 0
	v_bfe_u32 v13, v0, 10, 10
	s_lshl_b64 s[12:13], s[2:3], 2
	v_bfe_u32 v11, v0, 20, 10
	v_and_b32_e32 v7, 0x3ff, v0
	s_delay_alu instid0(VALU_DEP_3) | instskip(SKIP_1) | instid1(VALU_DEP_4)
	v_lshlrev_b32_e32 v1, 2, v13
	v_mul_u32_u24_e32 v10, 48, v13
	v_lshlrev_b32_e32 v12, 3, v11
	s_delay_alu instid0(VALU_DEP_3) | instskip(NEXT) | instid1(VALU_DEP_1)
	v_lshl_add_u32 v6, v11, 4, v1
	v_add_nc_u32_e32 v9, v6, v7
	s_waitcnt lgkmcnt(0)
	s_add_u32 s6, s6, s12
	s_addc_u32 s7, s7, s13
	s_load_b256 s[12:19], s[0:1], 0x0
	s_load_b32 s2, s[6:7], 0x0
	s_ashr_i32 s1, s8, 31
	s_ashr_i32 s6, s9, 31
	s_lshr_b32 s1, s1, 30
	s_lshr_b32 s6, s6, 30
	s_add_i32 s1, s8, s1
	s_add_i32 s6, s9, s6
	s_ashr_i32 s1, s1, 2
	s_ashr_i32 s6, s6, 2
	v_cvt_f32_u32_e32 v5, s1
	v_cvt_f32_u32_e32 v8, s6
	s_sub_i32 s8, 0, s1
	s_sub_i32 s9, 0, s6
	s_delay_alu instid0(VALU_DEP_2) | instskip(SKIP_2) | instid1(SALU_CYCLE_1)
	v_rcp_iflag_f32_e32 v5, v5
	s_waitcnt lgkmcnt(0)
	s_lshl_b32 s0, s2, 6
	v_dual_mov_b32 v3, 0 :: v_dual_add_nc_u32 v2, s0, v9
	s_waitcnt_depctr 0xfff
	v_mul_f32_e32 v5, 0x4f7ffffe, v5
	v_lshlrev_b64 v[0:1], 3, v[2:3]
	s_delay_alu instid0(VALU_DEP_2) | instskip(NEXT) | instid1(VALU_DEP_2)
	v_cvt_u32_f32_e32 v5, v5
	v_add_co_u32 v3, vcc_lo, s16, v0
	s_delay_alu instid0(VALU_DEP_3) | instskip(NEXT) | instid1(VALU_DEP_3)
	v_add_co_ci_u32_e32 v4, vcc_lo, s17, v1, vcc_lo
	v_readfirstlane_b32 s7, v5
	v_rcp_iflag_f32_e32 v5, v8
	global_load_b64 v[3:4], v[3:4], off
	s_mul_i32 s8, s8, s7
	s_delay_alu instid0(SALU_CYCLE_1) | instskip(NEXT) | instid1(SALU_CYCLE_1)
	s_mul_hi_u32 s8, s7, s8
	s_add_i32 s7, s7, s8
	v_mul_f32_e32 v5, 0x4f7ffffe, v5
	s_mul_hi_u32 s7, s2, s7
	s_delay_alu instid0(SALU_CYCLE_1)
	s_mul_i32 s8, s7, s1
	s_add_i32 s20, s7, 1
	s_sub_i32 s8, s2, s8
	v_cvt_u32_f32_e32 v5, v5
	s_sub_i32 s21, s8, s1
	s_cmp_ge_u32 s8, s1
	s_cselect_b32 s7, s20, s7
	s_delay_alu instid0(VALU_DEP_1)
	v_readfirstlane_b32 s20, v5
	v_mul_u32_u24_e32 v5, 0x120, v7
	s_cselect_b32 s8, s21, s8
	s_add_i32 s21, s7, 1
	s_cmp_ge_u32 s8, s1
	s_mul_i32 s9, s9, s20
	v_add3_u32 v25, v5, v10, v12
	s_mul_hi_u32 s8, s20, s9
	v_add_co_u32 v14, s9, s14, v2
	s_delay_alu instid0(VALU_DEP_1)
	v_add_co_ci_u32_e64 v15, null, s15, 0, s9
	s_cselect_b32 s7, s21, s7
	s_add_i32 s20, s20, s8
	s_mul_i32 s9, s7, s1
	s_mul_hi_u32 s8, s7, s20
	s_sub_i32 s9, s2, s9
                                        ; implicit-def: $vgpr5
	s_waitcnt vmcnt(0)
	ds_store_b64 v25, v[3:4] offset:344
	v_add_co_u32 v3, vcc_lo, s12, v0
	v_add_co_ci_u32_e32 v4, vcc_lo, s13, v1, vcc_lo
	s_mov_b32 s12, exec_lo
                                        ; implicit-def: $sgpr13
	global_load_b64 v[3:4], v[3:4], off
	global_load_u8 v8, v[14:15], off
	v_cmpx_lt_i32_e32 2, v7
	s_xor_b32 s12, exec_lo, s12
	s_cbranch_execnz .LBB0_36
; %bb.2:
	s_or_saveexec_b32 s12, s12
	v_mov_b32_e32 v14, s13
	s_xor_b32 exec_lo, exec_lo, s12
	s_cbranch_execnz .LBB0_39
.LBB0_3:
	s_or_b32 exec_lo, exec_lo, s12
	s_and_saveexec_b32 s9, s3
	s_cbranch_execz .LBB0_5
.LBB0_4:
	v_mov_b32_e32 v6, 0
	v_add3_u32 v14, v14, v10, v12
	s_delay_alu instid0(VALU_DEP_2) | instskip(NEXT) | instid1(VALU_DEP_1)
	v_lshlrev_b64 v[5:6], 3, v[5:6]
	v_add_co_u32 v5, vcc_lo, s16, v5
	s_delay_alu instid0(VALU_DEP_2)
	v_add_co_ci_u32_e32 v6, vcc_lo, s17, v6, vcc_lo
	global_load_b64 v[5:6], v[5:6], off
	s_waitcnt vmcnt(0)
	ds_store_b64 v14, v[5:6] offset:56
.LBB0_5:
	s_or_b32 exec_lo, exec_lo, s9
	s_mul_i32 s3, s8, s6
	s_add_i32 s9, s8, 1
	s_sub_i32 s3, s7, s3
	s_delay_alu instid0(SALU_CYCLE_1)
	s_sub_i32 s12, s3, s6
	s_cmp_ge_u32 s3, s6
	s_cselect_b32 s8, s9, s8
	s_cselect_b32 s3, s12, s3
	s_add_i32 s9, s8, 1
	s_cmp_ge_u32 s3, s6
	s_cselect_b32 s3, s9, s8
	s_mov_b32 s9, exec_lo
	s_mul_i32 s8, s3, s6
	s_delay_alu instid0(SALU_CYCLE_1)
	s_sub_i32 s8, s7, s8
	v_cmpx_lt_i32_e32 2, v13
	s_xor_b32 s9, exec_lo, s9
	s_cbranch_execz .LBB0_9
; %bb.6:
	s_mov_b32 s12, exec_lo
	v_cmpx_eq_u32_e32 3, v13
	s_cbranch_execz .LBB0_8
; %bb.7:
	s_add_i32 s14, s2, s1
	s_add_i32 s13, s6, -1
	v_dual_mov_b32 v6, 0 :: v_dual_add_nc_u32 v5, -12, v9
	s_lshl_b32 s14, s14, 6
	s_cmp_eq_u32 s8, s13
	v_mad_u32_u24 v12, 0x120, v7, v12
	s_cselect_b32 vcc_lo, -1, 0
	v_cndmask_b32_e32 v5, v5, v9, vcc_lo
	s_and_b32 s13, vcc_lo, exec_lo
	s_cselect_b32 s13, s0, s14
	s_delay_alu instid0(VALU_DEP_1) | instid1(SALU_CYCLE_1)
	v_add_nc_u32_e32 v5, s13, v5
	s_delay_alu instid0(VALU_DEP_1) | instskip(NEXT) | instid1(VALU_DEP_1)
	v_lshlrev_b64 v[5:6], 3, v[5:6]
	v_add_co_u32 v5, vcc_lo, s16, v5
	s_delay_alu instid0(VALU_DEP_2)
	v_add_co_ci_u32_e32 v6, vcc_lo, s17, v6, vcc_lo
	global_load_b64 v[5:6], v[5:6], off
	s_waitcnt vmcnt(0)
	ds_store_b64 v12, v[5:6] offset:536
.LBB0_8:
	s_or_b32 exec_lo, exec_lo, s12
                                        ; implicit-def: $vgpr13
                                        ; implicit-def: $vgpr12
.LBB0_9:
	s_and_not1_saveexec_b32 s9, s9
	s_cbranch_execz .LBB0_13
; %bb.10:
	s_mov_b32 s12, exec_lo
	v_cmpx_eq_u32_e32 0, v13
	s_cbranch_execz .LBB0_12
; %bb.11:
	s_sub_i32 s13, s2, s1
	v_dual_mov_b32 v6, 0 :: v_dual_add_nc_u32 v5, 12, v9
	s_lshl_b32 s13, s13, 6
	s_cmp_eq_u32 s8, 0
	v_mad_u32_u24 v12, 0x120, v7, v12
	s_cselect_b32 vcc_lo, -1, 0
	v_cndmask_b32_e32 v5, v5, v9, vcc_lo
	s_and_b32 s8, vcc_lo, exec_lo
	s_cselect_b32 s8, s0, s13
	s_delay_alu instid0(VALU_DEP_1) | instid1(SALU_CYCLE_1)
	v_add_nc_u32_e32 v5, s8, v5
	s_delay_alu instid0(VALU_DEP_1) | instskip(NEXT) | instid1(VALU_DEP_1)
	v_lshlrev_b64 v[5:6], 3, v[5:6]
	v_add_co_u32 v5, vcc_lo, s16, v5
	s_delay_alu instid0(VALU_DEP_2)
	v_add_co_ci_u32_e32 v6, vcc_lo, s17, v6, vcc_lo
	global_load_b64 v[5:6], v[5:6], off
	s_waitcnt vmcnt(0)
	ds_store_b64 v12, v[5:6] offset:296
.LBB0_12:
	s_or_b32 exec_lo, exec_lo, s12
.LBB0_13:
	s_delay_alu instid0(SALU_CYCLE_1) | instskip(NEXT) | instid1(SALU_CYCLE_1)
	s_or_b32 exec_lo, exec_lo, s9
	s_mov_b32 s8, exec_lo
	v_cmpx_lt_i32_e32 2, v11
	s_xor_b32 s8, exec_lo, s8
	s_cbranch_execz .LBB0_17
; %bb.14:
	s_mov_b32 s9, exec_lo
	v_cmpx_eq_u32_e32 3, v11
	s_cbranch_execz .LBB0_16
; %bb.15:
	s_ashr_i32 s12, s10, 31
	s_mul_i32 s13, s6, s1
	s_lshr_b32 s12, s12, 30
	v_subrev_nc_u32_e32 v5, 48, v9
	s_add_i32 s10, s10, s12
	s_add_i32 s12, s2, s13
	s_ashr_i32 s10, s10, 2
	s_lshl_b32 s12, s12, 6
	s_add_i32 s10, s10, -1
	v_mad_u32_u24 v7, 0x120, v7, v10
	s_cmp_eq_u32 s3, s10
	v_mov_b32_e32 v6, 0
	s_cselect_b32 vcc_lo, -1, 0
	v_cndmask_b32_e32 v5, v5, v9, vcc_lo
	s_and_b32 s3, vcc_lo, exec_lo
	s_cselect_b32 s3, s0, s12
	s_delay_alu instid0(VALU_DEP_1) | instid1(SALU_CYCLE_1)
	v_add_nc_u32_e32 v5, s3, v5
	s_delay_alu instid0(VALU_DEP_1) | instskip(NEXT) | instid1(VALU_DEP_1)
	v_lshlrev_b64 v[5:6], 3, v[5:6]
	v_add_co_u32 v5, vcc_lo, s16, v5
	s_delay_alu instid0(VALU_DEP_2)
	v_add_co_ci_u32_e32 v6, vcc_lo, s17, v6, vcc_lo
	global_load_b64 v[5:6], v[5:6], off
	s_waitcnt vmcnt(0)
	ds_store_b64 v7, v[5:6] offset:376
.LBB0_16:
	s_or_b32 exec_lo, exec_lo, s9
                                        ; implicit-def: $vgpr11
                                        ; implicit-def: $vgpr9
                                        ; implicit-def: $vgpr7
                                        ; implicit-def: $vgpr10
.LBB0_17:
	s_and_not1_saveexec_b32 s3, s8
	s_cbranch_execz .LBB0_21
; %bb.18:
	s_mov_b32 s8, exec_lo
	v_cmpx_eq_u32_e32 0, v11
	s_cbranch_execz .LBB0_20
; %bb.19:
	s_mul_i32 s1, s6, s1
	v_dual_mov_b32 v6, 0 :: v_dual_add_nc_u32 v5, 48, v9
	s_sub_i32 s1, s2, s1
	v_mad_u32_u24 v7, 0x120, v7, v10
	s_lshl_b32 s1, s1, 6
	s_cmp_gt_u32 s6, s7
	s_cselect_b32 vcc_lo, -1, 0
	v_cndmask_b32_e32 v5, v5, v9, vcc_lo
	s_and_b32 s2, vcc_lo, exec_lo
	s_cselect_b32 s0, s0, s1
	s_delay_alu instid0(VALU_DEP_1) | instid1(SALU_CYCLE_1)
	v_add_nc_u32_e32 v5, s0, v5
	s_delay_alu instid0(VALU_DEP_1) | instskip(NEXT) | instid1(VALU_DEP_1)
	v_lshlrev_b64 v[5:6], 3, v[5:6]
	v_add_co_u32 v5, vcc_lo, s16, v5
	s_delay_alu instid0(VALU_DEP_2)
	v_add_co_ci_u32_e32 v6, vcc_lo, s17, v6, vcc_lo
	global_load_b64 v[5:6], v[5:6], off
	s_waitcnt vmcnt(0)
	ds_store_b64 v7, v[5:6] offset:336
.LBB0_20:
	s_or_b32 exec_lo, exec_lo, s8
.LBB0_21:
	s_delay_alu instid0(SALU_CYCLE_1)
	s_or_b32 exec_lo, exec_lo, s3
	s_cmp_lt_i32 s11, 1
	s_waitcnt vmcnt(0) lgkmcnt(0)
	s_barrier
	buffer_gl0_inv
	s_cbranch_scc1 .LBB0_42
; %bb.22:
	v_div_scale_f64 v[5:6], null, v[3:4], v[3:4], 1.0
	v_div_scale_f64 v[13:14], vcc_lo, 1.0, v[3:4], 1.0
	v_and_b32_e32 v7, 1, v8
	s_mov_b32 s6, 0x78b58c40
	s_mov_b32 s7, 0x4415af1d
	s_delay_alu instid0(VALU_DEP_1) | instskip(NEXT) | instid1(VALU_DEP_4)
	v_cmp_eq_u32_e64 s0, 1, v7
	v_rcp_f64_e32 v[9:10], v[5:6]
	s_waitcnt_depctr 0xfff
	v_fma_f64 v[11:12], -v[5:6], v[9:10], 1.0
	s_delay_alu instid0(VALU_DEP_1) | instskip(NEXT) | instid1(VALU_DEP_1)
	v_fma_f64 v[9:10], v[9:10], v[11:12], v[9:10]
	v_fma_f64 v[11:12], -v[5:6], v[9:10], 1.0
	s_delay_alu instid0(VALU_DEP_1) | instskip(NEXT) | instid1(VALU_DEP_1)
	v_fma_f64 v[9:10], v[9:10], v[11:12], v[9:10]
	v_mul_f64 v[11:12], v[13:14], v[9:10]
	s_delay_alu instid0(VALU_DEP_1) | instskip(NEXT) | instid1(VALU_DEP_1)
	v_fma_f64 v[5:6], -v[5:6], v[11:12], v[13:14]
	v_div_fmas_f64 v[5:6], v[5:6], v[9:10], v[11:12]
	v_cmp_lt_f64_e32 vcc_lo, 0, v[3:4]
	s_delay_alu instid0(VALU_DEP_2) | instskip(NEXT) | instid1(VALU_DEP_1)
	v_div_fixup_f64 v[5:6], v[5:6], v[3:4], 1.0
	v_dual_cndmask_b32 v4, v4, v6 :: v_dual_cndmask_b32 v3, v3, v5
	s_delay_alu instid0(VALU_DEP_1) | instskip(SKIP_1) | instid1(VALU_DEP_2)
	v_add_f64 v[5:6], v[3:4], v[3:4]
	v_mul_f64 v[9:10], 0x40080000, v[3:4]
	v_mul_f64 v[5:6], v[3:4], v[5:6]
	s_delay_alu instid0(VALU_DEP_2)
	v_mul_f64 v[9:10], v[3:4], v[9:10]
	s_branch .LBB0_24
.LBB0_23:                               ;   in Loop: Header=BB0_24 Depth=1
	s_or_b32 exec_lo, exec_lo, s1
	s_add_i32 s11, s11, -1
	s_waitcnt lgkmcnt(0)
	s_cmp_eq_u32 s11, 0
	s_barrier
	buffer_gl0_inv
	s_cbranch_scc1 .LBB0_43
.LBB0_24:                               ; =>This Inner Loop Header: Depth=1
	ds_load_b64 v[7:8], v25 offset:344
	s_waitcnt lgkmcnt(0)
	v_dual_mov_b32 v12, v8 :: v_dual_mov_b32 v11, v7
	s_and_saveexec_b32 s3, s0
	s_cbranch_execz .LBB0_34
; %bb.25:                               ;   in Loop: Header=BB0_24 Depth=1
	ds_load_2addr_b64 v[11:14], v25 offset0:49 offset1:79
	ds_load_2addr_b64 v[15:18], v25 offset0:7 offset1:37
	s_mov_b32 s8, exec_lo
	s_waitcnt lgkmcnt(1)
	v_max_f64 v[19:20], v[13:14], v[13:14]
	s_waitcnt lgkmcnt(0)
	v_max_f64 v[15:16], v[15:16], v[15:16]
	v_max_f64 v[21:22], v[11:12], v[11:12]
	;; [unrolled: 1-line block ×3, first 2 shown]
	ds_load_2addr_b64 v[11:14], v25 offset0:42 offset1:44
	s_waitcnt lgkmcnt(0)
	v_max_f64 v[13:14], v[13:14], v[13:14]
	v_max_f64 v[11:12], v[11:12], v[11:12]
	v_min_f64 v[15:16], v[15:16], v[19:20]
	v_min_f64 v[17:18], v[17:18], v[21:22]
	s_delay_alu instid0(VALU_DEP_3) | instskip(SKIP_1) | instid1(VALU_DEP_3)
	v_min_f64 v[21:22], v[11:12], v[13:14]
	v_dual_mov_b32 v12, s7 :: v_dual_mov_b32 v11, s6
	v_cmp_lt_f64_e32 vcc_lo, v[15:16], v[17:18]
	v_dual_cndmask_b32 v24, v18, v16 :: v_dual_cndmask_b32 v23, v17, v15
	s_delay_alu instid0(VALU_DEP_1) | instskip(NEXT) | instid1(VALU_DEP_1)
	v_cmp_lt_f64_e64 s1, v[23:24], v[21:22]
	v_cndmask_b32_e64 v14, v22, v24, s1
	v_cndmask_b32_e64 v13, v21, v23, s1
	s_delay_alu instid0(VALU_DEP_1)
	v_cmpx_gt_f64_e32 s[6:7], v[13:14]
	s_cbranch_execz .LBB0_33
; %bb.26:                               ;   in Loop: Header=BB0_24 Depth=1
	v_dual_cndmask_b32 v20, v16, v18 :: v_dual_cndmask_b32 v19, v15, v17
	v_cndmask_b32_e64 v22, v24, v22, s1
	v_cndmask_b32_e64 v21, v23, v21, s1
	v_add_f64 v[11:12], v[3:4], v[13:14]
	s_mov_b32 s9, exec_lo
	s_delay_alu instid0(VALU_DEP_2) | instskip(SKIP_1) | instid1(VALU_DEP_1)
	v_cmp_lt_f64_e32 vcc_lo, v[19:20], v[21:22]
	v_dual_cndmask_b32 v18, v22, v20 :: v_dual_cndmask_b32 v17, v21, v19
	v_cmpx_gt_f64_e32 v[11:12], v[17:18]
	s_cbranch_execz .LBB0_32
; %bb.27:                               ;   in Loop: Header=BB0_24 Depth=1
	v_add_f64 v[15:16], v[17:18], -v[13:14]
	s_mov_b32 s10, exec_lo
	s_delay_alu instid0(VALU_DEP_1) | instskip(NEXT) | instid1(VALU_DEP_1)
	v_fma_f64 v[15:16], -v[15:16], v[15:16], v[5:6]
	v_cvt_f32_f64_e32 v15, v[15:16]
	s_delay_alu instid0(VALU_DEP_1) | instskip(SKIP_1) | instid1(VALU_DEP_1)
	v_mul_f32_e32 v16, 0x4f800000, v15
	v_cmp_gt_f32_e64 s1, 0xf800000, v15
	v_cndmask_b32_e64 v15, v15, v16, s1
	s_delay_alu instid0(VALU_DEP_1) | instskip(SKIP_3) | instid1(VALU_DEP_2)
	v_sqrt_f32_e32 v16, v15
	s_waitcnt_depctr 0xfff
	v_add_nc_u32_e32 v23, -1, v16
	v_add_nc_u32_e32 v24, 1, v16
	v_fma_f32 v26, -v23, v16, v15
	s_delay_alu instid0(VALU_DEP_2) | instskip(NEXT) | instid1(VALU_DEP_2)
	v_fma_f32 v27, -v24, v16, v15
	v_cmp_ge_f32_e64 s2, 0, v26
	s_delay_alu instid0(VALU_DEP_1) | instskip(NEXT) | instid1(VALU_DEP_3)
	v_cndmask_b32_e64 v16, v16, v23, s2
	v_cmp_lt_f32_e64 s2, 0, v27
	s_delay_alu instid0(VALU_DEP_1) | instskip(NEXT) | instid1(VALU_DEP_1)
	v_cndmask_b32_e64 v16, v16, v24, s2
	v_mul_f32_e32 v23, 0x37800000, v16
	s_delay_alu instid0(VALU_DEP_1) | instskip(SKIP_1) | instid1(VALU_DEP_1)
	v_cndmask_b32_e64 v16, v16, v23, s1
	v_cmp_class_f32_e64 s1, v15, 0x260
	v_cndmask_b32_e64 v23, v16, v15, s1
	v_add_f64 v[15:16], v[13:14], v[17:18]
	s_delay_alu instid0(VALU_DEP_2) | instskip(NEXT) | instid1(VALU_DEP_1)
	v_cvt_f64_f32_e32 v[23:24], v23
	v_add_f64 v[15:16], v[15:16], v[23:24]
	s_delay_alu instid0(VALU_DEP_1) | instskip(SKIP_1) | instid1(VALU_DEP_2)
	v_mul_f64 v[23:24], v[15:16], 0.5
	v_dual_cndmask_b32 v16, v20, v22 :: v_dual_cndmask_b32 v15, v19, v21
	v_cmp_gt_f64_e64 s1, v[23:24], v[17:18]
	s_delay_alu instid0(VALU_DEP_1) | instskip(SKIP_1) | instid1(VALU_DEP_1)
	v_cndmask_b32_e64 v12, v12, v24, s1
	v_cndmask_b32_e64 v11, v11, v23, s1
	v_cmpx_gt_f64_e32 v[11:12], v[15:16]
	s_cbranch_execz .LBB0_31
; %bb.28:                               ;   in Loop: Header=BB0_24 Depth=1
	v_add_f64 v[19:20], v[19:20], v[21:22]
	v_add_f64 v[23:24], v[13:14], -v[17:18]
	v_add_f64 v[28:29], v[17:18], -v[15:16]
	;; [unrolled: 1-line block ×3, first 2 shown]
	s_delay_alu instid0(VALU_DEP_4) | instskip(NEXT) | instid1(VALU_DEP_4)
	v_add_f64 v[19:20], v[13:14], v[19:20]
	v_mul_f64 v[17:18], v[17:18], v[23:24]
	s_delay_alu instid0(VALU_DEP_2) | instskip(NEXT) | instid1(VALU_DEP_2)
	v_div_scale_f64 v[21:22], null, 0x40080000, 0x40080000, v[19:20]
	v_fma_f64 v[17:18], v[15:16], v[28:29], v[17:18]
	s_delay_alu instid0(VALU_DEP_2) | instskip(NEXT) | instid1(VALU_DEP_1)
	v_rcp_f64_e32 v[26:27], v[21:22]
	v_fma_f64 v[13:14], v[13:14], v[30:31], v[17:18]
	s_delay_alu instid0(VALU_DEP_1) | instskip(SKIP_2) | instid1(VALU_DEP_1)
	v_fma_f64 v[13:14], v[13:14], 2.0, v[9:10]
	s_waitcnt_depctr 0xfff
	v_fma_f64 v[23:24], -v[21:22], v[26:27], 1.0
	v_fma_f64 v[23:24], v[26:27], v[23:24], v[26:27]
	v_div_scale_f64 v[26:27], vcc_lo, v[19:20], 0x40080000, v[19:20]
	s_delay_alu instid0(VALU_DEP_2) | instskip(NEXT) | instid1(VALU_DEP_1)
	v_fma_f64 v[17:18], -v[21:22], v[23:24], 1.0
	v_fma_f64 v[17:18], v[23:24], v[17:18], v[23:24]
	v_cvt_f32_f64_e32 v23, v[13:14]
	s_delay_alu instid0(VALU_DEP_2) | instskip(NEXT) | instid1(VALU_DEP_2)
	v_mul_f64 v[13:14], v[26:27], v[17:18]
	v_mul_f32_e32 v24, 0x4f800000, v23
	v_cmp_gt_f32_e64 s1, 0xf800000, v23
	s_delay_alu instid0(VALU_DEP_1) | instskip(NEXT) | instid1(VALU_DEP_1)
	v_cndmask_b32_e64 v23, v23, v24, s1
	v_sqrt_f32_e32 v24, v23
	s_waitcnt_depctr 0xfff
	v_add_nc_u32_e32 v28, -1, v24
	v_add_nc_u32_e32 v29, 1, v24
	s_delay_alu instid0(VALU_DEP_2) | instskip(NEXT) | instid1(VALU_DEP_2)
	v_fma_f32 v30, -v28, v24, v23
	v_fma_f32 v31, -v29, v24, v23
	s_delay_alu instid0(VALU_DEP_2) | instskip(NEXT) | instid1(VALU_DEP_1)
	v_cmp_ge_f32_e64 s2, 0, v30
	v_cndmask_b32_e64 v24, v24, v28, s2
	s_delay_alu instid0(VALU_DEP_3) | instskip(SKIP_1) | instid1(VALU_DEP_2)
	v_cmp_lt_f32_e64 s2, 0, v31
	v_fma_f64 v[21:22], -v[21:22], v[13:14], v[26:27]
	v_cndmask_b32_e64 v24, v24, v29, s2
	s_delay_alu instid0(VALU_DEP_1) | instskip(NEXT) | instid1(VALU_DEP_1)
	v_mul_f32_e32 v26, 0x37800000, v24
	v_cndmask_b32_e64 v24, v24, v26, s1
	v_cmp_class_f32_e64 s1, v23, 0x260
	s_delay_alu instid0(VALU_DEP_1) | instskip(SKIP_1) | instid1(VALU_DEP_1)
	v_cndmask_b32_e64 v23, v24, v23, s1
	s_mov_b32 s1, exec_lo
	v_div_scale_f32 v24, null, 0x40400000, 0x40400000, v23
	s_delay_alu instid0(VALU_DEP_1) | instskip(SKIP_4) | instid1(VALU_DEP_1)
	v_rcp_f32_e32 v26, v24
	v_div_fmas_f64 v[13:14], v[21:22], v[17:18], v[13:14]
	v_div_scale_f32 v17, vcc_lo, v23, 0x40400000, v23
	s_waitcnt_depctr 0xfff
	v_fma_f32 v27, -v24, v26, 1.0
	v_fmac_f32_e32 v26, v27, v26
	s_delay_alu instid0(VALU_DEP_1) | instskip(NEXT) | instid1(VALU_DEP_1)
	v_mul_f32_e32 v18, v17, v26
	v_fma_f32 v21, -v24, v18, v17
	s_delay_alu instid0(VALU_DEP_1) | instskip(NEXT) | instid1(VALU_DEP_1)
	v_fmac_f32_e32 v18, v21, v26
	v_fma_f32 v17, -v24, v18, v17
	s_delay_alu instid0(VALU_DEP_1) | instskip(NEXT) | instid1(VALU_DEP_1)
	v_div_fmas_f32 v17, v17, v26, v18
	v_div_fixup_f32 v17, v17, 0x40400000, v23
	v_div_fixup_f64 v[13:14], v[13:14], 0x40080000, v[19:20]
	s_delay_alu instid0(VALU_DEP_2) | instskip(NEXT) | instid1(VALU_DEP_1)
	v_cvt_f64_f32_e32 v[17:18], v17
	v_add_f64 v[13:14], v[13:14], v[17:18]
	s_delay_alu instid0(VALU_DEP_1)
	v_cmpx_gt_f64_e32 v[13:14], v[15:16]
; %bb.29:                               ;   in Loop: Header=BB0_24 Depth=1
	v_dual_mov_b32 v11, v13 :: v_dual_mov_b32 v12, v14
; %bb.30:                               ;   in Loop: Header=BB0_24 Depth=1
	s_or_b32 exec_lo, exec_lo, s1
.LBB0_31:                               ;   in Loop: Header=BB0_24 Depth=1
	s_delay_alu instid0(SALU_CYCLE_1)
	s_or_b32 exec_lo, exec_lo, s10
.LBB0_32:                               ;   in Loop: Header=BB0_24 Depth=1
	s_delay_alu instid0(SALU_CYCLE_1)
	s_or_b32 exec_lo, exec_lo, s9
.LBB0_33:                               ;   in Loop: Header=BB0_24 Depth=1
	s_delay_alu instid0(SALU_CYCLE_1) | instskip(SKIP_2) | instid1(VALU_DEP_1)
	s_or_b32 exec_lo, exec_lo, s8
	v_max_f64 v[13:14], v[7:8], v[7:8]
	v_max_f64 v[11:12], v[11:12], v[11:12]
	v_min_f64 v[11:12], v[11:12], v[13:14]
.LBB0_34:                               ;   in Loop: Header=BB0_24 Depth=1
	s_or_b32 exec_lo, exec_lo, s3
	s_barrier
	buffer_gl0_inv
	s_and_saveexec_b32 s1, s0
	s_cbranch_execz .LBB0_23
; %bb.35:                               ;   in Loop: Header=BB0_24 Depth=1
	ds_store_b64 v25, v[11:12] offset:344
	s_branch .LBB0_23
.LBB0_36:
	s_mov_b32 s14, exec_lo
                                        ; implicit-def: $sgpr13
                                        ; implicit-def: $vgpr5
	v_cmpx_eq_u32_e32 3, v7
; %bb.37:
	s_add_i32 s13, s1, -1
	v_add_nc_u32_e32 v5, -3, v9
	s_add_i32 s15, s0, 64
	s_cmp_eq_u32 s9, s13
	s_mov_b32 s3, exec_lo
	s_cselect_b32 vcc_lo, -1, 0
	v_cndmask_b32_e32 v5, v5, v9, vcc_lo
	s_and_b32 s13, vcc_lo, exec_lo
	s_cselect_b32 s13, s0, s15
	s_delay_alu instid0(VALU_DEP_1) | instid1(SALU_CYCLE_1)
	v_add_nc_u32_e32 v5, s13, v5
	s_movk_i32 s13, 0x5a0
; %bb.38:
	s_or_b32 exec_lo, exec_lo, s14
	s_delay_alu instid0(SALU_CYCLE_1)
	s_and_b32 s3, s3, exec_lo
                                        ; implicit-def: $vgpr6
	s_or_saveexec_b32 s12, s12
	v_mov_b32_e32 v14, s13
	s_xor_b32 exec_lo, exec_lo, s12
	s_cbranch_execz .LBB0_3
.LBB0_39:
	s_mov_b32 s13, 0
	s_mov_b32 s15, s3
	s_mov_b32 s14, exec_lo
                                        ; implicit-def: $vgpr5
	v_cmpx_eq_u32_e32 0, v7
; %bb.40:
	v_or_b32_e32 v5, 3, v6
	s_sub_i32 s15, s0, 64
	s_cmp_eq_u32 s9, 0
	s_cselect_b32 vcc_lo, -1, 0
	s_delay_alu instid0(VALU_DEP_1) | instskip(SKIP_3) | instid1(VALU_DEP_1)
	v_cndmask_b32_e32 v5, v5, v9, vcc_lo
	s_and_b32 s9, vcc_lo, exec_lo
	s_cselect_b32 s9, s0, s15
	s_or_b32 s15, s3, exec_lo
	v_add_nc_u32_e32 v5, s9, v5
; %bb.41:
	s_or_b32 exec_lo, exec_lo, s14
	v_mov_b32_e32 v14, s13
	s_and_not1_b32 s3, s3, exec_lo
	s_and_b32 s9, s15, exec_lo
	s_delay_alu instid0(SALU_CYCLE_1)
	s_or_b32 s3, s3, s9
	s_or_b32 exec_lo, exec_lo, s12
	s_and_saveexec_b32 s9, s3
	s_cbranch_execnz .LBB0_4
	s_branch .LBB0_5
.LBB0_42:
                                        ; implicit-def: $vgpr11_vgpr12
                                        ; implicit-def: $vgpr7_vgpr8
.LBB0_43:
	v_add_f64 v[3:4], v[7:8], -v[11:12]
	s_mov_b32 s0, 0x97d889bc
	s_mov_b32 s1, 0x3c9cd2b2
	v_add_co_u32 v5, s2, s4, v2
	s_delay_alu instid0(VALU_DEP_1) | instskip(NEXT) | instid1(VALU_DEP_3)
	v_add_co_ci_u32_e64 v6, null, s5, 0, s2
	v_cmp_gt_f64_e32 vcc_lo, s[0:1], v[3:4]
	v_cndmask_b32_e64 v2, 0, 1, vcc_lo
	v_add_co_u32 v0, vcc_lo, s18, v0
	v_add_co_ci_u32_e32 v1, vcc_lo, s19, v1, vcc_lo
	global_store_b8 v[5:6], v2, off
	global_store_b64 v[0:1], v[11:12], off
.LBB0_44:
	s_nop 0
	s_sendmsg sendmsg(MSG_DEALLOC_VGPRS)
	s_endpgm
	.section	.rodata,"a",@progbits
	.p2align	6, 0x0
	.amdhsa_kernel _Z10run_solverPKdPKbS0_PdPbPKjiiiij
		.amdhsa_group_segment_fixed_size 1728
		.amdhsa_private_segment_fixed_size 0
		.amdhsa_kernarg_size 328
		.amdhsa_user_sgpr_count 14
		.amdhsa_user_sgpr_dispatch_ptr 0
		.amdhsa_user_sgpr_queue_ptr 0
		.amdhsa_user_sgpr_kernarg_segment_ptr 1
		.amdhsa_user_sgpr_dispatch_id 0
		.amdhsa_user_sgpr_private_segment_size 0
		.amdhsa_wavefront_size32 1
		.amdhsa_uses_dynamic_stack 0
		.amdhsa_enable_private_segment 0
		.amdhsa_system_sgpr_workgroup_id_x 1
		.amdhsa_system_sgpr_workgroup_id_y 1
		.amdhsa_system_sgpr_workgroup_id_z 0
		.amdhsa_system_sgpr_workgroup_info 0
		.amdhsa_system_vgpr_workitem_id 2
		.amdhsa_next_free_vgpr 32
		.amdhsa_next_free_sgpr 22
		.amdhsa_reserve_vcc 1
		.amdhsa_float_round_mode_32 0
		.amdhsa_float_round_mode_16_64 0
		.amdhsa_float_denorm_mode_32 3
		.amdhsa_float_denorm_mode_16_64 3
		.amdhsa_dx10_clamp 1
		.amdhsa_ieee_mode 1
		.amdhsa_fp16_overflow 0
		.amdhsa_workgroup_processor_mode 1
		.amdhsa_memory_ordered 1
		.amdhsa_forward_progress 0
		.amdhsa_shared_vgpr_count 0
		.amdhsa_exception_fp_ieee_invalid_op 0
		.amdhsa_exception_fp_denorm_src 0
		.amdhsa_exception_fp_ieee_div_zero 0
		.amdhsa_exception_fp_ieee_overflow 0
		.amdhsa_exception_fp_ieee_underflow 0
		.amdhsa_exception_fp_ieee_inexact 0
		.amdhsa_exception_int_div_zero 0
	.end_amdhsa_kernel
	.text
.Lfunc_end0:
	.size	_Z10run_solverPKdPKbS0_PdPbPKjiiiij, .Lfunc_end0-_Z10run_solverPKdPKbS0_PdPbPKjiiiij
                                        ; -- End function
	.section	.AMDGPU.csdata,"",@progbits
; Kernel info:
; codeLenInByte = 2832
; NumSgprs: 24
; NumVgprs: 32
; ScratchSize: 0
; MemoryBound: 0
; FloatMode: 240
; IeeeMode: 1
; LDSByteSize: 1728 bytes/workgroup (compile time only)
; SGPRBlocks: 2
; VGPRBlocks: 3
; NumSGPRsForWavesPerEU: 24
; NumVGPRsForWavesPerEU: 32
; Occupancy: 16
; WaveLimiterHint : 1
; COMPUTE_PGM_RSRC2:SCRATCH_EN: 0
; COMPUTE_PGM_RSRC2:USER_SGPR: 14
; COMPUTE_PGM_RSRC2:TRAP_HANDLER: 0
; COMPUTE_PGM_RSRC2:TGID_X_EN: 1
; COMPUTE_PGM_RSRC2:TGID_Y_EN: 1
; COMPUTE_PGM_RSRC2:TGID_Z_EN: 0
; COMPUTE_PGM_RSRC2:TIDIG_COMP_CNT: 2
	.text
	.protected	_Z13run_reductionPKbPbPKjj ; -- Begin function _Z13run_reductionPKbPbPKjj
	.globl	_Z13run_reductionPKbPbPKjj
	.p2align	8
	.type	_Z13run_reductionPKbPbPKjj,@function
_Z13run_reductionPKbPbPKjj:             ; @_Z13run_reductionPKbPbPKjj
; %bb.0:
	s_clause 0x1
	s_load_b32 s2, s[0:1], 0x20
	s_load_b32 s3, s[0:1], 0x18
	s_waitcnt lgkmcnt(0)
	s_mul_i32 s2, s2, s15
	s_delay_alu instid0(SALU_CYCLE_1) | instskip(NEXT) | instid1(SALU_CYCLE_1)
	s_add_i32 s2, s2, s14
	s_cmp_ge_u32 s2, s3
	s_cbranch_scc1 .LBB1_15
; %bb.1:
	s_load_b64 s[4:5], s[0:1], 0x10
	s_mov_b32 s3, 0
	v_and_b32_e32 v1, 0x3ff, v0
	s_lshl_b64 s[2:3], s[2:3], 2
	v_bfe_u32 v2, v0, 10, 10
	v_bfe_u32 v0, v0, 20, 10
	s_delay_alu instid0(VALU_DEP_2) | instskip(NEXT) | instid1(VALU_DEP_1)
	v_lshl_add_u32 v1, v2, 2, v1
	v_lshl_add_u32 v0, v0, 4, v1
	s_waitcnt lgkmcnt(0)
	s_add_u32 s2, s4, s2
	s_addc_u32 s3, s5, s3
	s_load_b64 s[4:5], s[0:1], 0x0
	s_load_b32 s2, s[2:3], 0x0
	s_mov_b32 s3, exec_lo
	s_waitcnt lgkmcnt(0)
	v_lshl_add_u32 v2, s2, 6, v0
	s_delay_alu instid0(VALU_DEP_1)
	v_add_nc_u32_e32 v3, 32, v2
	s_clause 0x1
	global_load_u8 v2, v2, s[4:5]
	global_load_u8 v3, v3, s[4:5]
	s_waitcnt vmcnt(1)
	ds_store_b8 v0, v2
	s_waitcnt vmcnt(0)
	ds_store_b8 v0, v3 offset:32
	s_waitcnt lgkmcnt(0)
	s_barrier
	buffer_gl0_inv
	v_cmpx_gt_u32_e32 32, v0
	s_cbranch_execz .LBB1_3
; %bb.2:
	ds_load_u8 v2, v0
	ds_load_u8 v3, v0 offset:32
	s_waitcnt lgkmcnt(0)
	v_and_b32_e32 v2, v2, v3
	ds_store_b8 v0, v2
.LBB1_3:
	s_or_b32 exec_lo, exec_lo, s3
	s_delay_alu instid0(SALU_CYCLE_1)
	s_mov_b32 s3, exec_lo
	s_waitcnt lgkmcnt(0)
	s_barrier
	buffer_gl0_inv
	v_cmpx_gt_u32_e32 16, v0
	s_cbranch_execz .LBB1_5
; %bb.4:
	ds_load_u8 v2, v0
	ds_load_u8 v3, v1 offset:16
	s_waitcnt lgkmcnt(0)
	v_and_b32_e32 v2, v2, v3
	ds_store_b8 v0, v2
.LBB1_5:
	s_or_b32 exec_lo, exec_lo, s3
	s_delay_alu instid0(SALU_CYCLE_1)
	s_mov_b32 s3, exec_lo
	;; [unrolled: 15-line block ×4, first 2 shown]
	s_waitcnt lgkmcnt(0)
	s_barrier
	buffer_gl0_inv
	v_cmpx_gt_u32_e32 2, v0
	s_cbranch_execz .LBB1_11
; %bb.10:
	ds_load_u8 v2, v0
	ds_load_u8 v1, v1 offset:2
	s_waitcnt lgkmcnt(0)
	v_and_b32_e32 v1, v2, v1
	ds_store_b8 v0, v1
.LBB1_11:
	s_or_b32 exec_lo, exec_lo, s3
	v_cmp_eq_u32_e32 vcc_lo, 0, v0
	s_waitcnt lgkmcnt(0)
	s_barrier
	buffer_gl0_inv
	s_and_saveexec_b32 s3, vcc_lo
	s_cbranch_execz .LBB1_13
; %bb.12:
	v_mov_b32_e32 v1, 0
	ds_load_u8 v2, v0
	ds_load_u8 v1, v1 offset:1
	s_waitcnt lgkmcnt(0)
	v_and_b32_e32 v1, v2, v1
	ds_store_b8 v0, v1
.LBB1_13:
	s_or_b32 exec_lo, exec_lo, s3
	s_waitcnt lgkmcnt(0)
	s_barrier
	buffer_gl0_inv
	s_and_saveexec_b32 s3, vcc_lo
	s_cbranch_execz .LBB1_15
; %bb.14:
	v_dual_mov_b32 v0, 0 :: v_dual_mov_b32 v1, s2
	s_load_b64 s[0:1], s[0:1], 0x8
	ds_load_u8 v0, v0
	s_waitcnt lgkmcnt(0)
	v_and_b32_e32 v0, 1, v0
	s_delay_alu instid0(VALU_DEP_1) | instskip(SKIP_1) | instid1(SALU_CYCLE_1)
	v_cmp_eq_u32_e32 vcc_lo, 1, v0
	s_xor_b32 s3, vcc_lo, -1
	v_cndmask_b32_e64 v0, 0, 1, s3
	global_store_b8 v1, v0, s[0:1]
.LBB1_15:
	s_nop 0
	s_sendmsg sendmsg(MSG_DEALLOC_VGPRS)
	s_endpgm
	.section	.rodata,"a",@progbits
	.p2align	6, 0x0
	.amdhsa_kernel _Z13run_reductionPKbPbPKjj
		.amdhsa_group_segment_fixed_size 64
		.amdhsa_private_segment_fixed_size 0
		.amdhsa_kernarg_size 288
		.amdhsa_user_sgpr_count 14
		.amdhsa_user_sgpr_dispatch_ptr 0
		.amdhsa_user_sgpr_queue_ptr 0
		.amdhsa_user_sgpr_kernarg_segment_ptr 1
		.amdhsa_user_sgpr_dispatch_id 0
		.amdhsa_user_sgpr_private_segment_size 0
		.amdhsa_wavefront_size32 1
		.amdhsa_uses_dynamic_stack 0
		.amdhsa_enable_private_segment 0
		.amdhsa_system_sgpr_workgroup_id_x 1
		.amdhsa_system_sgpr_workgroup_id_y 1
		.amdhsa_system_sgpr_workgroup_id_z 0
		.amdhsa_system_sgpr_workgroup_info 0
		.amdhsa_system_vgpr_workitem_id 2
		.amdhsa_next_free_vgpr 4
		.amdhsa_next_free_sgpr 16
		.amdhsa_reserve_vcc 1
		.amdhsa_float_round_mode_32 0
		.amdhsa_float_round_mode_16_64 0
		.amdhsa_float_denorm_mode_32 3
		.amdhsa_float_denorm_mode_16_64 3
		.amdhsa_dx10_clamp 1
		.amdhsa_ieee_mode 1
		.amdhsa_fp16_overflow 0
		.amdhsa_workgroup_processor_mode 1
		.amdhsa_memory_ordered 1
		.amdhsa_forward_progress 0
		.amdhsa_shared_vgpr_count 0
		.amdhsa_exception_fp_ieee_invalid_op 0
		.amdhsa_exception_fp_denorm_src 0
		.amdhsa_exception_fp_ieee_div_zero 0
		.amdhsa_exception_fp_ieee_overflow 0
		.amdhsa_exception_fp_ieee_underflow 0
		.amdhsa_exception_fp_ieee_inexact 0
		.amdhsa_exception_int_div_zero 0
	.end_amdhsa_kernel
	.text
.Lfunc_end1:
	.size	_Z13run_reductionPKbPbPKjj, .Lfunc_end1-_Z13run_reductionPKbPbPKjj
                                        ; -- End function
	.section	.AMDGPU.csdata,"",@progbits
; Kernel info:
; codeLenInByte = 696
; NumSgprs: 18
; NumVgprs: 4
; ScratchSize: 0
; MemoryBound: 0
; FloatMode: 240
; IeeeMode: 1
; LDSByteSize: 64 bytes/workgroup (compile time only)
; SGPRBlocks: 2
; VGPRBlocks: 0
; NumSGPRsForWavesPerEU: 18
; NumVGPRsForWavesPerEU: 4
; Occupancy: 16
; WaveLimiterHint : 1
; COMPUTE_PGM_RSRC2:SCRATCH_EN: 0
; COMPUTE_PGM_RSRC2:USER_SGPR: 14
; COMPUTE_PGM_RSRC2:TRAP_HANDLER: 0
; COMPUTE_PGM_RSRC2:TGID_X_EN: 1
; COMPUTE_PGM_RSRC2:TGID_Y_EN: 1
; COMPUTE_PGM_RSRC2:TGID_Z_EN: 0
; COMPUTE_PGM_RSRC2:TIDIG_COMP_CNT: 2
	.text
	.protected	_Z18run_check_neighborPKdPKbS0_PdPbPKjiiijj ; -- Begin function _Z18run_check_neighborPKdPKbS0_PdPbPKjiiijj
	.globl	_Z18run_check_neighborPKdPKbS0_PdPbPKjiiijj
	.p2align	8
	.type	_Z18run_check_neighborPKdPKbS0_PdPbPKjiiijj,@function
_Z18run_check_neighborPKdPKbS0_PdPbPKjiiijj: ; @_Z18run_check_neighborPKdPKbS0_PdPbPKjiiijj
; %bb.0:
	s_clause 0x1
	s_load_b32 s2, s[0:1], 0x48
	s_load_b32 s3, s[0:1], 0x40
	s_waitcnt lgkmcnt(0)
	s_mul_i32 s2, s2, s15
	s_delay_alu instid0(SALU_CYCLE_1) | instskip(NEXT) | instid1(SALU_CYCLE_1)
	s_add_i32 s2, s2, s14
	s_cmp_ge_u32 s2, s3
	s_cbranch_scc1 .LBB2_35
; %bb.1:
	s_load_b64 s[4:5], s[0:1], 0x28
	s_mov_b32 s3, 0
	v_bfe_u32 v13, v0, 10, 10
	s_lshl_b64 s[6:7], s[2:3], 2
	v_bfe_u32 v9, v0, 20, 10
	v_and_b32_e32 v7, 0x3ff, v0
	s_delay_alu instid0(VALU_DEP_3) | instskip(NEXT) | instid1(VALU_DEP_1)
	v_lshlrev_b32_e32 v1, 2, v13
	v_lshl_add_u32 v6, v9, 4, v1
	s_delay_alu instid0(VALU_DEP_1)
	v_add_nc_u32_e32 v8, v6, v7
	s_waitcnt lgkmcnt(0)
	s_add_u32 s4, s4, s6
	s_addc_u32 s5, s5, s7
	s_load_b32 s16, s[4:5], 0x0
	s_clause 0x1
	s_load_b128 s[8:11], s[0:1], 0x30
	s_load_b128 s[4:7], s[0:1], 0x10
	s_waitcnt lgkmcnt(0)
	s_lshl_b32 s17, s16, 6
	s_cmp_ge_u32 s2, s11
	v_add_nc_u32_e32 v0, s17, v8
	s_mov_b32 s2, -1
	s_cbranch_scc0 .LBB2_33
; %bb.2:
	v_dual_mov_b32 v1, 0 :: v_dual_lshlrev_b32 v14, 3, v9
	s_ashr_i32 s2, s8, 31
	v_mul_u32_u24_e32 v11, 48, v13
	s_lshr_b32 s2, s2, 30
	s_delay_alu instid0(VALU_DEP_2) | instskip(SKIP_1) | instid1(SALU_CYCLE_1)
	v_lshlrev_b64 v[1:2], 3, v[0:1]
	s_add_i32 s2, s8, s2
	s_ashr_i32 s8, s2, 2
	s_ashr_i32 s2, s9, 31
	v_cvt_f32_u32_e32 v5, s8
	s_delay_alu instid0(VALU_DEP_2) | instskip(SKIP_1) | instid1(VALU_DEP_3)
	v_add_co_u32 v3, vcc_lo, s4, v1
	v_add_co_ci_u32_e32 v4, vcc_lo, s5, v2, vcc_lo
	v_rcp_iflag_f32_e32 v5, v5
	s_lshr_b32 s2, s2, 30
	s_sub_i32 s3, 0, s8
	global_load_b64 v[3:4], v[3:4], off
	s_add_i32 s2, s9, s2
	s_delay_alu instid0(SALU_CYCLE_1) | instskip(SKIP_1) | instid1(VALU_DEP_1)
	s_ashr_i32 s9, s2, 2
	v_mul_f32_e32 v5, 0x4f7ffffe, v5
	v_cvt_u32_f32_e32 v5, v5
	s_delay_alu instid0(VALU_DEP_1) | instskip(SKIP_1) | instid1(VALU_DEP_2)
	v_readfirstlane_b32 s2, v5
	v_cvt_f32_u32_e32 v5, s9
	s_mul_i32 s3, s3, s2
	s_delay_alu instid0(VALU_DEP_1) | instskip(SKIP_1) | instid1(SALU_CYCLE_1)
	v_rcp_iflag_f32_e32 v5, v5
	s_mul_hi_u32 s3, s2, s3
	s_add_i32 s2, s2, s3
	s_delay_alu instid0(SALU_CYCLE_1)
	s_mul_hi_u32 s11, s16, s2
	s_clause 0x1
	s_load_b128 s[12:15], s[0:1], 0x0
	s_load_b64 s[2:3], s[0:1], 0x20
	s_mul_i32 s0, s11, s8
	s_sub_i32 s1, 0, s9
	s_sub_i32 s0, s16, s0
	s_waitcnt_depctr 0xfff
	v_mul_f32_e32 v5, 0x4f7ffffe, v5
	s_add_i32 s18, s11, 1
	s_sub_i32 s19, s0, s8
	s_cmp_ge_u32 s0, s8
	s_delay_alu instid0(VALU_DEP_1)
	v_cvt_u32_f32_e32 v5, v5
	s_cselect_b32 s11, s18, s11
	s_cselect_b32 s0, s19, s0
	s_add_i32 s19, s11, 1
	s_cmp_ge_u32 s0, s8
	v_readfirstlane_b32 s18, v5
	v_mul_u32_u24_e32 v5, 0x120, v7
	s_cselect_b32 s0, s19, s11
	s_waitcnt lgkmcnt(0)
	v_add_co_u32 v15, s11, s14, v0
	s_delay_alu instid0(VALU_DEP_2)
	v_add3_u32 v10, v5, v11, v14
	v_add_co_ci_u32_e64 v16, null, s15, 0, s11
	s_mul_i32 s1, s1, s18
	s_mul_i32 s11, s0, s8
	s_mul_hi_u32 s1, s18, s1
	s_sub_i32 s11, s16, s11
	s_add_i32 s18, s18, s1
                                        ; implicit-def: $sgpr14
                                        ; implicit-def: $vgpr5
	s_delay_alu instid0(SALU_CYCLE_1)
	s_mul_hi_u32 s1, s0, s18
	s_waitcnt vmcnt(0)
	ds_store_b64 v10, v[3:4] offset:344
	v_add_co_u32 v3, vcc_lo, s12, v1
	v_add_co_ci_u32_e32 v4, vcc_lo, s13, v2, vcc_lo
	s_mov_b32 s12, 0
	s_mov_b32 s13, exec_lo
	global_load_b64 v[3:4], v[3:4], off
	global_load_u8 v12, v[15:16], off
	v_cmpx_lt_i32_e32 2, v7
	s_xor_b32 s13, exec_lo, s13
	s_cbranch_execnz .LBB2_36
; %bb.3:
	s_or_saveexec_b32 s13, s13
	v_mov_b32_e32 v15, s14
	s_xor_b32 exec_lo, exec_lo, s13
	s_cbranch_execnz .LBB2_39
.LBB2_4:
	s_or_b32 exec_lo, exec_lo, s13
	s_and_saveexec_b32 s11, s12
	s_cbranch_execz .LBB2_6
.LBB2_5:
	v_mov_b32_e32 v6, 0
	v_add3_u32 v15, v15, v11, v14
	s_delay_alu instid0(VALU_DEP_2) | instskip(NEXT) | instid1(VALU_DEP_1)
	v_lshlrev_b64 v[5:6], 3, v[5:6]
	v_add_co_u32 v5, vcc_lo, s4, v5
	s_delay_alu instid0(VALU_DEP_2)
	v_add_co_ci_u32_e32 v6, vcc_lo, s5, v6, vcc_lo
	global_load_b64 v[5:6], v[5:6], off
	s_waitcnt vmcnt(0)
	ds_store_b64 v15, v[5:6] offset:56
.LBB2_6:
	s_or_b32 exec_lo, exec_lo, s11
	s_mul_i32 s11, s1, s9
	s_add_i32 s12, s1, 1
	s_sub_i32 s11, s0, s11
	s_delay_alu instid0(SALU_CYCLE_1)
	s_sub_i32 s13, s11, s9
	s_cmp_ge_u32 s11, s9
	s_cselect_b32 s1, s12, s1
	s_cselect_b32 s11, s13, s11
	s_add_i32 s12, s1, 1
	s_cmp_ge_u32 s11, s9
	s_cselect_b32 s1, s12, s1
	s_mov_b32 s12, exec_lo
	s_mul_i32 s11, s1, s9
	s_delay_alu instid0(SALU_CYCLE_1)
	s_sub_i32 s11, s0, s11
	v_cmpx_lt_i32_e32 2, v13
	s_xor_b32 s12, exec_lo, s12
	s_cbranch_execz .LBB2_10
; %bb.7:
	s_mov_b32 s13, exec_lo
	v_cmpx_eq_u32_e32 3, v13
	s_cbranch_execz .LBB2_9
; %bb.8:
	s_add_i32 s15, s16, s8
	s_add_i32 s14, s9, -1
	v_dual_mov_b32 v6, 0 :: v_dual_add_nc_u32 v5, -12, v8
	s_lshl_b32 s15, s15, 6
	s_cmp_eq_u32 s11, s14
	v_mad_u32_u24 v13, 0x120, v7, v14
	s_cselect_b32 vcc_lo, -1, 0
	v_cndmask_b32_e32 v5, v5, v8, vcc_lo
	s_and_b32 s14, vcc_lo, exec_lo
	s_cselect_b32 s14, s17, s15
	s_delay_alu instid0(VALU_DEP_1) | instid1(SALU_CYCLE_1)
	v_add_nc_u32_e32 v5, s14, v5
	s_delay_alu instid0(VALU_DEP_1) | instskip(NEXT) | instid1(VALU_DEP_1)
	v_lshlrev_b64 v[5:6], 3, v[5:6]
	v_add_co_u32 v5, vcc_lo, s4, v5
	s_delay_alu instid0(VALU_DEP_2)
	v_add_co_ci_u32_e32 v6, vcc_lo, s5, v6, vcc_lo
	global_load_b64 v[5:6], v[5:6], off
	s_waitcnt vmcnt(0)
	ds_store_b64 v13, v[5:6] offset:536
.LBB2_9:
	s_or_b32 exec_lo, exec_lo, s13
                                        ; implicit-def: $vgpr13
                                        ; implicit-def: $vgpr14
.LBB2_10:
	s_and_not1_saveexec_b32 s12, s12
	s_cbranch_execz .LBB2_14
; %bb.11:
	s_mov_b32 s13, exec_lo
	v_cmpx_eq_u32_e32 0, v13
	s_cbranch_execz .LBB2_13
; %bb.12:
	s_sub_i32 s14, s16, s8
	v_dual_mov_b32 v6, 0 :: v_dual_add_nc_u32 v5, 12, v8
	s_lshl_b32 s14, s14, 6
	s_cmp_eq_u32 s11, 0
	v_mad_u32_u24 v13, 0x120, v7, v14
	s_cselect_b32 vcc_lo, -1, 0
	v_cndmask_b32_e32 v5, v5, v8, vcc_lo
	s_and_b32 s11, vcc_lo, exec_lo
	s_cselect_b32 s11, s17, s14
	s_delay_alu instid0(VALU_DEP_1) | instid1(SALU_CYCLE_1)
	v_add_nc_u32_e32 v5, s11, v5
	s_delay_alu instid0(VALU_DEP_1) | instskip(NEXT) | instid1(VALU_DEP_1)
	v_lshlrev_b64 v[5:6], 3, v[5:6]
	v_add_co_u32 v5, vcc_lo, s4, v5
	s_delay_alu instid0(VALU_DEP_2)
	v_add_co_ci_u32_e32 v6, vcc_lo, s5, v6, vcc_lo
	global_load_b64 v[5:6], v[5:6], off
	s_waitcnt vmcnt(0)
	ds_store_b64 v13, v[5:6] offset:296
.LBB2_13:
	s_or_b32 exec_lo, exec_lo, s13
.LBB2_14:
	s_delay_alu instid0(SALU_CYCLE_1) | instskip(NEXT) | instid1(SALU_CYCLE_1)
	s_or_b32 exec_lo, exec_lo, s12
	s_mov_b32 s11, exec_lo
	v_cmpx_lt_i32_e32 2, v9
	s_xor_b32 s11, exec_lo, s11
	s_cbranch_execz .LBB2_18
; %bb.15:
	s_mov_b32 s12, exec_lo
	v_cmpx_eq_u32_e32 3, v9
	s_cbranch_execz .LBB2_17
; %bb.16:
	s_ashr_i32 s13, s10, 31
	s_mul_i32 s14, s9, s8
	s_lshr_b32 s13, s13, 30
	v_subrev_nc_u32_e32 v5, 48, v8
	s_add_i32 s10, s10, s13
	s_add_i32 s13, s16, s14
	s_ashr_i32 s10, s10, 2
	s_lshl_b32 s13, s13, 6
	s_add_i32 s10, s10, -1
	v_mad_u32_u24 v7, 0x120, v7, v11
	s_cmp_eq_u32 s1, s10
	v_mov_b32_e32 v6, 0
	s_cselect_b32 vcc_lo, -1, 0
	v_cndmask_b32_e32 v5, v5, v8, vcc_lo
	s_and_b32 s1, vcc_lo, exec_lo
	s_cselect_b32 s1, s17, s13
	s_delay_alu instid0(VALU_DEP_1) | instid1(SALU_CYCLE_1)
	v_add_nc_u32_e32 v5, s1, v5
	s_delay_alu instid0(VALU_DEP_1) | instskip(NEXT) | instid1(VALU_DEP_1)
	v_lshlrev_b64 v[5:6], 3, v[5:6]
	v_add_co_u32 v5, vcc_lo, s4, v5
	s_delay_alu instid0(VALU_DEP_2)
	v_add_co_ci_u32_e32 v6, vcc_lo, s5, v6, vcc_lo
	global_load_b64 v[5:6], v[5:6], off
	s_waitcnt vmcnt(0)
	ds_store_b64 v7, v[5:6] offset:376
.LBB2_17:
	s_or_b32 exec_lo, exec_lo, s12
                                        ; implicit-def: $vgpr9
                                        ; implicit-def: $vgpr8
                                        ; implicit-def: $vgpr7
                                        ; implicit-def: $vgpr11
.LBB2_18:
	s_and_not1_saveexec_b32 s1, s11
	s_cbranch_execz .LBB2_22
; %bb.19:
	s_mov_b32 s10, exec_lo
	v_cmpx_eq_u32_e32 0, v9
	s_cbranch_execz .LBB2_21
; %bb.20:
	s_mul_i32 s8, s9, s8
	v_dual_mov_b32 v6, 0 :: v_dual_add_nc_u32 v5, 48, v8
	s_sub_i32 s8, s16, s8
	v_mad_u32_u24 v7, 0x120, v7, v11
	s_lshl_b32 s8, s8, 6
	s_cmp_gt_u32 s9, s0
	s_cselect_b32 vcc_lo, -1, 0
	v_cndmask_b32_e32 v5, v5, v8, vcc_lo
	s_and_b32 s0, vcc_lo, exec_lo
	s_cselect_b32 s0, s17, s8
	s_delay_alu instid0(VALU_DEP_1) | instid1(SALU_CYCLE_1)
	v_add_nc_u32_e32 v5, s0, v5
	s_delay_alu instid0(VALU_DEP_1) | instskip(NEXT) | instid1(VALU_DEP_1)
	v_lshlrev_b64 v[5:6], 3, v[5:6]
	v_add_co_u32 v5, vcc_lo, s4, v5
	s_delay_alu instid0(VALU_DEP_2)
	v_add_co_ci_u32_e32 v6, vcc_lo, s5, v6, vcc_lo
	global_load_b64 v[5:6], v[5:6], off
	s_waitcnt vmcnt(0)
	ds_store_b64 v7, v[5:6] offset:336
.LBB2_21:
	s_or_b32 exec_lo, exec_lo, s10
.LBB2_22:
	s_delay_alu instid0(SALU_CYCLE_1)
	s_or_b32 exec_lo, exec_lo, s1
	s_waitcnt vmcnt(0) lgkmcnt(0)
	s_barrier
	buffer_gl0_inv
	ds_load_b64 v[5:6], v10 offset:344
	v_and_b32_e32 v7, 1, v12
	s_delay_alu instid0(VALU_DEP_1)
	v_cmp_eq_u32_e32 vcc_lo, 1, v7
	s_waitcnt lgkmcnt(0)
	v_dual_mov_b32 v8, v6 :: v_dual_mov_b32 v7, v5
	s_and_saveexec_b32 s8, vcc_lo
	s_cbranch_execz .LBB2_32
; %bb.23:
	ds_load_2addr_b64 v[11:14], v10 offset0:49 offset1:79
	ds_load_2addr_b64 v[15:18], v10 offset0:7 offset1:37
	ds_load_2addr_b64 v[7:10], v10 offset0:42 offset1:44
	s_mov_b32 s10, 0x78b58c40
	s_mov_b32 s11, 0x4415af1d
	s_mov_b32 s9, exec_lo
	s_waitcnt lgkmcnt(2)
	v_max_f64 v[13:14], v[13:14], v[13:14]
	s_waitcnt lgkmcnt(1)
	v_max_f64 v[15:16], v[15:16], v[15:16]
	v_max_f64 v[19:20], v[11:12], v[11:12]
	;; [unrolled: 1-line block ×3, first 2 shown]
	s_waitcnt lgkmcnt(0)
	v_max_f64 v[9:10], v[9:10], v[9:10]
	v_max_f64 v[7:8], v[7:8], v[7:8]
	v_min_f64 v[11:12], v[15:16], v[13:14]
	s_delay_alu instid0(VALU_DEP_4) | instskip(NEXT) | instid1(VALU_DEP_3)
	v_min_f64 v[13:14], v[17:18], v[19:20]
	v_min_f64 v[17:18], v[7:8], v[9:10]
	v_dual_mov_b32 v7, s10 :: v_dual_mov_b32 v8, s11
	s_delay_alu instid0(VALU_DEP_3) | instskip(NEXT) | instid1(VALU_DEP_1)
	v_cmp_lt_f64_e64 s0, v[11:12], v[13:14]
	v_cndmask_b32_e64 v20, v14, v12, s0
	v_cndmask_b32_e64 v19, v13, v11, s0
	s_delay_alu instid0(VALU_DEP_1) | instskip(NEXT) | instid1(VALU_DEP_1)
	v_cmp_lt_f64_e64 s1, v[19:20], v[17:18]
	v_cndmask_b32_e64 v10, v18, v20, s1
	v_cndmask_b32_e64 v9, v17, v19, s1
	s_delay_alu instid0(VALU_DEP_1)
	v_cmpx_gt_f64_e32 s[10:11], v[9:10]
	s_cbranch_execz .LBB2_31
; %bb.24:
	v_div_scale_f64 v[7:8], null, v[3:4], v[3:4], 1.0
	v_div_scale_f64 v[23:24], vcc_lo, 1.0, v[3:4], 1.0
	v_cndmask_b32_e64 v18, v20, v18, s1
	v_cndmask_b32_e64 v17, v19, v17, s1
	s_mov_b32 s10, exec_lo
	s_delay_alu instid0(VALU_DEP_4) | instskip(SKIP_2) | instid1(VALU_DEP_1)
	v_rcp_f64_e32 v[15:16], v[7:8]
	s_waitcnt_depctr 0xfff
	v_fma_f64 v[21:22], -v[7:8], v[15:16], 1.0
	v_fma_f64 v[15:16], v[15:16], v[21:22], v[15:16]
	s_delay_alu instid0(VALU_DEP_1) | instskip(NEXT) | instid1(VALU_DEP_1)
	v_fma_f64 v[21:22], -v[7:8], v[15:16], 1.0
	v_fma_f64 v[15:16], v[15:16], v[21:22], v[15:16]
	s_delay_alu instid0(VALU_DEP_1) | instskip(NEXT) | instid1(VALU_DEP_1)
	v_mul_f64 v[21:22], v[23:24], v[15:16]
	v_fma_f64 v[7:8], -v[7:8], v[21:22], v[23:24]
	s_delay_alu instid0(VALU_DEP_1) | instskip(SKIP_3) | instid1(VALU_DEP_4)
	v_div_fmas_f64 v[7:8], v[7:8], v[15:16], v[21:22]
	v_cmp_lt_f64_e32 vcc_lo, 0, v[3:4]
	v_cndmask_b32_e64 v16, v12, v14, s0
	v_cndmask_b32_e64 v15, v11, v13, s0
	v_div_fixup_f64 v[7:8], v[7:8], v[3:4], 1.0
	s_delay_alu instid0(VALU_DEP_1) | instskip(NEXT) | instid1(VALU_DEP_3)
	v_dual_cndmask_b32 v4, v4, v8 :: v_dual_cndmask_b32 v3, v3, v7
	v_cmp_lt_f64_e32 vcc_lo, v[15:16], v[17:18]
	s_delay_alu instid0(VALU_DEP_2) | instskip(SKIP_1) | instid1(VALU_DEP_1)
	v_add_f64 v[7:8], v[3:4], v[9:10]
	v_dual_cndmask_b32 v14, v18, v16 :: v_dual_cndmask_b32 v13, v17, v15
	v_cmpx_gt_f64_e32 v[7:8], v[13:14]
	s_cbranch_execz .LBB2_30
; %bb.25:
	v_add_f64 v[11:12], v[13:14], -v[9:10]
	v_add_f64 v[19:20], v[3:4], v[3:4]
	s_mov_b32 s11, exec_lo
	s_delay_alu instid0(VALU_DEP_2) | instskip(NEXT) | instid1(VALU_DEP_1)
	v_mul_f64 v[11:12], v[11:12], v[11:12]
	v_fma_f64 v[11:12], v[3:4], v[19:20], -v[11:12]
	s_delay_alu instid0(VALU_DEP_1) | instskip(NEXT) | instid1(VALU_DEP_1)
	v_cvt_f32_f64_e32 v11, v[11:12]
	v_mul_f32_e32 v12, 0x4f800000, v11
	v_cmp_gt_f32_e64 s0, 0xf800000, v11
	s_delay_alu instid0(VALU_DEP_1) | instskip(NEXT) | instid1(VALU_DEP_1)
	v_cndmask_b32_e64 v11, v11, v12, s0
	v_sqrt_f32_e32 v12, v11
	s_waitcnt_depctr 0xfff
	v_add_nc_u32_e32 v19, -1, v12
	v_add_nc_u32_e32 v20, 1, v12
	s_delay_alu instid0(VALU_DEP_2) | instskip(NEXT) | instid1(VALU_DEP_2)
	v_fma_f32 v21, -v19, v12, v11
	v_fma_f32 v22, -v20, v12, v11
	s_delay_alu instid0(VALU_DEP_2) | instskip(NEXT) | instid1(VALU_DEP_1)
	v_cmp_ge_f32_e64 s1, 0, v21
	v_cndmask_b32_e64 v12, v12, v19, s1
	s_delay_alu instid0(VALU_DEP_3) | instskip(NEXT) | instid1(VALU_DEP_1)
	v_cmp_lt_f32_e64 s1, 0, v22
	v_cndmask_b32_e64 v12, v12, v20, s1
	s_delay_alu instid0(VALU_DEP_1) | instskip(NEXT) | instid1(VALU_DEP_1)
	v_mul_f32_e32 v19, 0x37800000, v12
	v_cndmask_b32_e64 v12, v12, v19, s0
	v_cmp_class_f32_e64 s0, v11, 0x260
	s_delay_alu instid0(VALU_DEP_1) | instskip(SKIP_1) | instid1(VALU_DEP_2)
	v_cndmask_b32_e64 v19, v12, v11, s0
	v_add_f64 v[11:12], v[9:10], v[13:14]
	v_cvt_f64_f32_e32 v[19:20], v19
	s_delay_alu instid0(VALU_DEP_1) | instskip(NEXT) | instid1(VALU_DEP_1)
	v_add_f64 v[11:12], v[11:12], v[19:20]
	v_mul_f64 v[19:20], v[11:12], 0.5
	v_dual_cndmask_b32 v12, v16, v18 :: v_dual_cndmask_b32 v11, v15, v17
	s_delay_alu instid0(VALU_DEP_2) | instskip(NEXT) | instid1(VALU_DEP_1)
	v_cmp_gt_f64_e64 s0, v[19:20], v[13:14]
	v_cndmask_b32_e64 v8, v8, v20, s0
	v_cndmask_b32_e64 v7, v7, v19, s0
	s_delay_alu instid0(VALU_DEP_1)
	v_cmpx_gt_f64_e32 v[7:8], v[11:12]
	s_cbranch_execz .LBB2_29
; %bb.26:
	v_add_f64 v[15:16], v[15:16], v[17:18]
	v_add_f64 v[17:18], v[9:10], -v[13:14]
	v_add_f64 v[21:22], v[13:14], -v[11:12]
	;; [unrolled: 1-line block ×3, first 2 shown]
	s_delay_alu instid0(VALU_DEP_4) | instskip(NEXT) | instid1(VALU_DEP_4)
	v_add_f64 v[15:16], v[9:10], v[15:16]
	v_mul_f64 v[13:14], v[13:14], v[17:18]
	s_delay_alu instid0(VALU_DEP_2) | instskip(NEXT) | instid1(VALU_DEP_2)
	v_div_scale_f64 v[19:20], null, 0x40080000, 0x40080000, v[15:16]
	v_fma_f64 v[13:14], v[11:12], v[21:22], v[13:14]
	s_delay_alu instid0(VALU_DEP_2) | instskip(NEXT) | instid1(VALU_DEP_1)
	v_rcp_f64_e32 v[17:18], v[19:20]
	v_fma_f64 v[9:10], v[9:10], v[23:24], v[13:14]
	s_delay_alu instid0(VALU_DEP_1) | instskip(SKIP_2) | instid1(VALU_DEP_1)
	v_add_f64 v[9:10], v[9:10], v[9:10]
	s_waitcnt_depctr 0xfff
	v_fma_f64 v[21:22], -v[19:20], v[17:18], 1.0
	v_fma_f64 v[13:14], v[17:18], v[21:22], v[17:18]
	v_mul_f64 v[17:18], 0x40080000, v[3:4]
	s_delay_alu instid0(VALU_DEP_2) | instskip(NEXT) | instid1(VALU_DEP_2)
	v_fma_f64 v[21:22], -v[19:20], v[13:14], 1.0
	v_fma_f64 v[3:4], v[3:4], v[17:18], v[9:10]
	v_div_scale_f64 v[9:10], vcc_lo, v[15:16], 0x40080000, v[15:16]
	s_delay_alu instid0(VALU_DEP_3) | instskip(NEXT) | instid1(VALU_DEP_3)
	v_fma_f64 v[13:14], v[13:14], v[21:22], v[13:14]
	v_cvt_f32_f64_e32 v17, v[3:4]
	s_delay_alu instid0(VALU_DEP_2) | instskip(NEXT) | instid1(VALU_DEP_2)
	v_mul_f64 v[3:4], v[9:10], v[13:14]
	v_mul_f32_e32 v18, 0x4f800000, v17
	v_cmp_gt_f32_e64 s0, 0xf800000, v17
	s_delay_alu instid0(VALU_DEP_1) | instskip(NEXT) | instid1(VALU_DEP_1)
	v_cndmask_b32_e64 v17, v17, v18, s0
	v_sqrt_f32_e32 v18, v17
	s_waitcnt_depctr 0xfff
	v_add_nc_u32_e32 v21, -1, v18
	v_add_nc_u32_e32 v22, 1, v18
	s_delay_alu instid0(VALU_DEP_2) | instskip(NEXT) | instid1(VALU_DEP_2)
	v_fma_f32 v23, -v21, v18, v17
	v_fma_f32 v24, -v22, v18, v17
	s_delay_alu instid0(VALU_DEP_2) | instskip(NEXT) | instid1(VALU_DEP_1)
	v_cmp_ge_f32_e64 s1, 0, v23
	v_cndmask_b32_e64 v18, v18, v21, s1
	s_delay_alu instid0(VALU_DEP_3) | instskip(SKIP_1) | instid1(VALU_DEP_2)
	v_cmp_lt_f32_e64 s1, 0, v24
	v_fma_f64 v[9:10], -v[19:20], v[3:4], v[9:10]
	v_cndmask_b32_e64 v18, v18, v22, s1
	s_delay_alu instid0(VALU_DEP_1) | instskip(NEXT) | instid1(VALU_DEP_1)
	v_mul_f32_e32 v19, 0x37800000, v18
	v_cndmask_b32_e64 v18, v18, v19, s0
	v_cmp_class_f32_e64 s0, v17, 0x260
	s_delay_alu instid0(VALU_DEP_1) | instskip(SKIP_1) | instid1(VALU_DEP_1)
	v_cndmask_b32_e64 v17, v18, v17, s0
	s_mov_b32 s0, exec_lo
	v_div_scale_f32 v18, null, 0x40400000, 0x40400000, v17
	s_delay_alu instid0(VALU_DEP_1) | instskip(SKIP_4) | instid1(VALU_DEP_1)
	v_rcp_f32_e32 v19, v18
	v_div_fmas_f64 v[3:4], v[9:10], v[13:14], v[3:4]
	v_div_scale_f32 v9, vcc_lo, v17, 0x40400000, v17
	s_waitcnt_depctr 0xfff
	v_fma_f32 v20, -v18, v19, 1.0
	v_fmac_f32_e32 v19, v20, v19
	s_delay_alu instid0(VALU_DEP_1) | instskip(NEXT) | instid1(VALU_DEP_1)
	v_mul_f32_e32 v10, v9, v19
	v_fma_f32 v13, -v18, v10, v9
	s_delay_alu instid0(VALU_DEP_1) | instskip(NEXT) | instid1(VALU_DEP_1)
	v_fmac_f32_e32 v10, v13, v19
	v_fma_f32 v9, -v18, v10, v9
	s_delay_alu instid0(VALU_DEP_1) | instskip(NEXT) | instid1(VALU_DEP_1)
	v_div_fmas_f32 v9, v9, v19, v10
	v_div_fixup_f32 v9, v9, 0x40400000, v17
	v_div_fixup_f64 v[3:4], v[3:4], 0x40080000, v[15:16]
	s_delay_alu instid0(VALU_DEP_2) | instskip(NEXT) | instid1(VALU_DEP_1)
	v_cvt_f64_f32_e32 v[9:10], v9
	v_add_f64 v[3:4], v[3:4], v[9:10]
	s_delay_alu instid0(VALU_DEP_1)
	v_cmpx_gt_f64_e32 v[3:4], v[11:12]
; %bb.27:
	v_dual_mov_b32 v8, v4 :: v_dual_mov_b32 v7, v3
; %bb.28:
	s_or_b32 exec_lo, exec_lo, s0
.LBB2_29:
	s_delay_alu instid0(SALU_CYCLE_1)
	s_or_b32 exec_lo, exec_lo, s11
.LBB2_30:
	s_delay_alu instid0(SALU_CYCLE_1)
	s_or_b32 exec_lo, exec_lo, s10
.LBB2_31:
	s_delay_alu instid0(SALU_CYCLE_1) | instskip(SKIP_4) | instid1(VALU_DEP_3)
	s_or_b32 exec_lo, exec_lo, s9
	v_max_f64 v[3:4], v[5:6], v[5:6]
	v_max_f64 v[7:8], v[7:8], v[7:8]
	v_add_co_u32 v1, vcc_lo, s6, v1
	v_add_co_ci_u32_e32 v2, vcc_lo, s7, v2, vcc_lo
	v_min_f64 v[7:8], v[7:8], v[3:4]
	global_store_b64 v[1:2], v[7:8], off
.LBB2_32:
	s_or_b32 exec_lo, exec_lo, s8
	s_delay_alu instid0(VALU_DEP_1) | instskip(SKIP_3) | instid1(VALU_DEP_1)
	v_add_f64 v[1:2], v[5:6], -v[7:8]
	s_mov_b32 s0, 0x97d889bc
	s_mov_b32 s1, 0x3c9cd2b2
	v_add_co_u32 v3, s2, s2, v0
	v_add_co_ci_u32_e64 v4, null, s3, 0, s2
	s_mov_b32 s2, 0
	s_delay_alu instid0(VALU_DEP_3)
	v_cmp_gt_f64_e32 vcc_lo, s[0:1], v[1:2]
	v_cndmask_b32_e64 v1, 0, 1, vcc_lo
	global_store_b8 v[3:4], v1, off
.LBB2_33:
	s_and_b32 vcc_lo, exec_lo, s2
	s_cbranch_vccz .LBB2_35
; %bb.34:
	v_mov_b32_e32 v1, 0
	s_delay_alu instid0(VALU_DEP_1) | instskip(NEXT) | instid1(VALU_DEP_1)
	v_lshlrev_b64 v[0:1], 3, v[0:1]
	v_add_co_u32 v2, vcc_lo, s4, v0
	s_delay_alu instid0(VALU_DEP_2)
	v_add_co_ci_u32_e32 v3, vcc_lo, s5, v1, vcc_lo
	v_add_co_u32 v0, vcc_lo, s6, v0
	v_add_co_ci_u32_e32 v1, vcc_lo, s7, v1, vcc_lo
	global_load_b64 v[2:3], v[2:3], off
	s_waitcnt vmcnt(0)
	global_store_b64 v[0:1], v[2:3], off
.LBB2_35:
	s_nop 0
	s_sendmsg sendmsg(MSG_DEALLOC_VGPRS)
	s_endpgm
.LBB2_36:
	s_mov_b32 s15, exec_lo
                                        ; implicit-def: $sgpr14
                                        ; implicit-def: $vgpr5
	v_cmpx_eq_u32_e32 3, v7
; %bb.37:
	s_add_i32 s14, s8, -1
	v_add_nc_u32_e32 v5, -3, v8
	s_add_i32 s18, s17, 64
	s_cmp_eq_u32 s11, s14
	s_mov_b32 s12, exec_lo
	s_cselect_b32 vcc_lo, -1, 0
	v_cndmask_b32_e32 v5, v5, v8, vcc_lo
	s_and_b32 s14, vcc_lo, exec_lo
	s_cselect_b32 s14, s17, s18
	s_delay_alu instid0(VALU_DEP_1) | instid1(SALU_CYCLE_1)
	v_add_nc_u32_e32 v5, s14, v5
	s_movk_i32 s14, 0x5a0
; %bb.38:
	s_or_b32 exec_lo, exec_lo, s15
	s_delay_alu instid0(SALU_CYCLE_1)
	s_and_b32 s12, s12, exec_lo
                                        ; implicit-def: $vgpr6
	s_or_saveexec_b32 s13, s13
	v_mov_b32_e32 v15, s14
	s_xor_b32 exec_lo, exec_lo, s13
	s_cbranch_execz .LBB2_4
.LBB2_39:
	s_mov_b32 s14, 0
	s_mov_b32 s18, s12
	s_mov_b32 s15, exec_lo
                                        ; implicit-def: $vgpr5
	v_cmpx_eq_u32_e32 0, v7
; %bb.40:
	v_or_b32_e32 v5, 3, v6
	s_sub_i32 s18, s17, 64
	s_cmp_eq_u32 s11, 0
	s_cselect_b32 vcc_lo, -1, 0
	s_delay_alu instid0(VALU_DEP_1) | instskip(SKIP_3) | instid1(VALU_DEP_1)
	v_cndmask_b32_e32 v5, v5, v8, vcc_lo
	s_and_b32 s11, vcc_lo, exec_lo
	s_cselect_b32 s11, s17, s18
	s_or_b32 s18, s12, exec_lo
	v_add_nc_u32_e32 v5, s11, v5
; %bb.41:
	s_or_b32 exec_lo, exec_lo, s15
	v_mov_b32_e32 v15, s14
	s_and_not1_b32 s11, s12, exec_lo
	s_and_b32 s12, s18, exec_lo
	s_delay_alu instid0(SALU_CYCLE_1)
	s_or_b32 s12, s11, s12
	s_or_b32 exec_lo, exec_lo, s13
	s_and_saveexec_b32 s11, s12
	s_cbranch_execnz .LBB2_5
	s_branch .LBB2_6
	.section	.rodata,"a",@progbits
	.p2align	6, 0x0
	.amdhsa_kernel _Z18run_check_neighborPKdPKbS0_PdPbPKjiiijj
		.amdhsa_group_segment_fixed_size 1728
		.amdhsa_private_segment_fixed_size 0
		.amdhsa_kernarg_size 328
		.amdhsa_user_sgpr_count 14
		.amdhsa_user_sgpr_dispatch_ptr 0
		.amdhsa_user_sgpr_queue_ptr 0
		.amdhsa_user_sgpr_kernarg_segment_ptr 1
		.amdhsa_user_sgpr_dispatch_id 0
		.amdhsa_user_sgpr_private_segment_size 0
		.amdhsa_wavefront_size32 1
		.amdhsa_uses_dynamic_stack 0
		.amdhsa_enable_private_segment 0
		.amdhsa_system_sgpr_workgroup_id_x 1
		.amdhsa_system_sgpr_workgroup_id_y 1
		.amdhsa_system_sgpr_workgroup_id_z 0
		.amdhsa_system_sgpr_workgroup_info 0
		.amdhsa_system_vgpr_workitem_id 2
		.amdhsa_next_free_vgpr 25
		.amdhsa_next_free_sgpr 20
		.amdhsa_reserve_vcc 1
		.amdhsa_float_round_mode_32 0
		.amdhsa_float_round_mode_16_64 0
		.amdhsa_float_denorm_mode_32 3
		.amdhsa_float_denorm_mode_16_64 3
		.amdhsa_dx10_clamp 1
		.amdhsa_ieee_mode 1
		.amdhsa_fp16_overflow 0
		.amdhsa_workgroup_processor_mode 1
		.amdhsa_memory_ordered 1
		.amdhsa_forward_progress 0
		.amdhsa_shared_vgpr_count 0
		.amdhsa_exception_fp_ieee_invalid_op 0
		.amdhsa_exception_fp_denorm_src 0
		.amdhsa_exception_fp_ieee_div_zero 0
		.amdhsa_exception_fp_ieee_overflow 0
		.amdhsa_exception_fp_ieee_underflow 0
		.amdhsa_exception_fp_ieee_inexact 0
		.amdhsa_exception_int_div_zero 0
	.end_amdhsa_kernel
	.text
.Lfunc_end2:
	.size	_Z18run_check_neighborPKdPKbS0_PdPbPKjiiijj, .Lfunc_end2-_Z18run_check_neighborPKdPKbS0_PdPbPKjiiijj
                                        ; -- End function
	.section	.AMDGPU.csdata,"",@progbits
; Kernel info:
; codeLenInByte = 2920
; NumSgprs: 22
; NumVgprs: 25
; ScratchSize: 0
; MemoryBound: 0
; FloatMode: 240
; IeeeMode: 1
; LDSByteSize: 1728 bytes/workgroup (compile time only)
; SGPRBlocks: 2
; VGPRBlocks: 3
; NumSGPRsForWavesPerEU: 22
; NumVGPRsForWavesPerEU: 25
; Occupancy: 16
; WaveLimiterHint : 1
; COMPUTE_PGM_RSRC2:SCRATCH_EN: 0
; COMPUTE_PGM_RSRC2:USER_SGPR: 14
; COMPUTE_PGM_RSRC2:TRAP_HANDLER: 0
; COMPUTE_PGM_RSRC2:TGID_X_EN: 1
; COMPUTE_PGM_RSRC2:TGID_Y_EN: 1
; COMPUTE_PGM_RSRC2:TGID_Z_EN: 0
; COMPUTE_PGM_RSRC2:TIDIG_COMP_CNT: 2
	.text
	.p2alignl 7, 3214868480
	.fill 96, 4, 3214868480
	.type	__hip_cuid_43a2de83f1ece2d9,@object ; @__hip_cuid_43a2de83f1ece2d9
	.section	.bss,"aw",@nobits
	.globl	__hip_cuid_43a2de83f1ece2d9
__hip_cuid_43a2de83f1ece2d9:
	.byte	0                               ; 0x0
	.size	__hip_cuid_43a2de83f1ece2d9, 1

	.ident	"AMD clang version 19.0.0git (https://github.com/RadeonOpenCompute/llvm-project roc-6.4.0 25133 c7fe45cf4b819c5991fe208aaa96edf142730f1d)"
	.section	".note.GNU-stack","",@progbits
	.addrsig
	.addrsig_sym __hip_cuid_43a2de83f1ece2d9
	.amdgpu_metadata
---
amdhsa.kernels:
  - .args:
      - .actual_access:  read_only
        .address_space:  global
        .offset:         0
        .size:           8
        .value_kind:     global_buffer
      - .actual_access:  read_only
        .address_space:  global
        .offset:         8
        .size:           8
        .value_kind:     global_buffer
      - .actual_access:  read_only
        .address_space:  global
        .offset:         16
        .size:           8
        .value_kind:     global_buffer
      - .actual_access:  write_only
        .address_space:  global
        .offset:         24
        .size:           8
        .value_kind:     global_buffer
      - .actual_access:  write_only
        .address_space:  global
        .offset:         32
        .size:           8
        .value_kind:     global_buffer
      - .actual_access:  read_only
        .address_space:  global
        .offset:         40
        .size:           8
        .value_kind:     global_buffer
      - .offset:         48
        .size:           4
        .value_kind:     by_value
      - .offset:         52
        .size:           4
        .value_kind:     by_value
      - .offset:         56
        .size:           4
        .value_kind:     by_value
      - .offset:         60
        .size:           4
        .value_kind:     by_value
      - .offset:         64
        .size:           4
        .value_kind:     by_value
      - .offset:         72
        .size:           4
        .value_kind:     hidden_block_count_x
      - .offset:         76
        .size:           4
        .value_kind:     hidden_block_count_y
      - .offset:         80
        .size:           4
        .value_kind:     hidden_block_count_z
      - .offset:         84
        .size:           2
        .value_kind:     hidden_group_size_x
      - .offset:         86
        .size:           2
        .value_kind:     hidden_group_size_y
      - .offset:         88
        .size:           2
        .value_kind:     hidden_group_size_z
      - .offset:         90
        .size:           2
        .value_kind:     hidden_remainder_x
      - .offset:         92
        .size:           2
        .value_kind:     hidden_remainder_y
      - .offset:         94
        .size:           2
        .value_kind:     hidden_remainder_z
      - .offset:         112
        .size:           8
        .value_kind:     hidden_global_offset_x
      - .offset:         120
        .size:           8
        .value_kind:     hidden_global_offset_y
      - .offset:         128
        .size:           8
        .value_kind:     hidden_global_offset_z
      - .offset:         136
        .size:           2
        .value_kind:     hidden_grid_dims
    .group_segment_fixed_size: 1728
    .kernarg_segment_align: 8
    .kernarg_segment_size: 328
    .language:       OpenCL C
    .language_version:
      - 2
      - 0
    .max_flat_workgroup_size: 1024
    .name:           _Z10run_solverPKdPKbS0_PdPbPKjiiiij
    .private_segment_fixed_size: 0
    .sgpr_count:     24
    .sgpr_spill_count: 0
    .symbol:         _Z10run_solverPKdPKbS0_PdPbPKjiiiij.kd
    .uniform_work_group_size: 1
    .uses_dynamic_stack: false
    .vgpr_count:     32
    .vgpr_spill_count: 0
    .wavefront_size: 32
    .workgroup_processor_mode: 1
  - .args:
      - .actual_access:  read_only
        .address_space:  global
        .offset:         0
        .size:           8
        .value_kind:     global_buffer
      - .actual_access:  write_only
        .address_space:  global
        .offset:         8
        .size:           8
        .value_kind:     global_buffer
      - .actual_access:  read_only
        .address_space:  global
        .offset:         16
        .size:           8
        .value_kind:     global_buffer
      - .offset:         24
        .size:           4
        .value_kind:     by_value
      - .offset:         32
        .size:           4
        .value_kind:     hidden_block_count_x
      - .offset:         36
        .size:           4
        .value_kind:     hidden_block_count_y
      - .offset:         40
        .size:           4
        .value_kind:     hidden_block_count_z
      - .offset:         44
        .size:           2
        .value_kind:     hidden_group_size_x
      - .offset:         46
        .size:           2
        .value_kind:     hidden_group_size_y
      - .offset:         48
        .size:           2
        .value_kind:     hidden_group_size_z
      - .offset:         50
        .size:           2
        .value_kind:     hidden_remainder_x
      - .offset:         52
        .size:           2
        .value_kind:     hidden_remainder_y
      - .offset:         54
        .size:           2
        .value_kind:     hidden_remainder_z
      - .offset:         72
        .size:           8
        .value_kind:     hidden_global_offset_x
      - .offset:         80
        .size:           8
        .value_kind:     hidden_global_offset_y
      - .offset:         88
        .size:           8
        .value_kind:     hidden_global_offset_z
      - .offset:         96
        .size:           2
        .value_kind:     hidden_grid_dims
    .group_segment_fixed_size: 64
    .kernarg_segment_align: 8
    .kernarg_segment_size: 288
    .language:       OpenCL C
    .language_version:
      - 2
      - 0
    .max_flat_workgroup_size: 1024
    .name:           _Z13run_reductionPKbPbPKjj
    .private_segment_fixed_size: 0
    .sgpr_count:     18
    .sgpr_spill_count: 0
    .symbol:         _Z13run_reductionPKbPbPKjj.kd
    .uniform_work_group_size: 1
    .uses_dynamic_stack: false
    .vgpr_count:     4
    .vgpr_spill_count: 0
    .wavefront_size: 32
    .workgroup_processor_mode: 1
  - .args:
      - .actual_access:  read_only
        .address_space:  global
        .offset:         0
        .size:           8
        .value_kind:     global_buffer
      - .actual_access:  read_only
        .address_space:  global
        .offset:         8
        .size:           8
        .value_kind:     global_buffer
      - .actual_access:  read_only
        .address_space:  global
        .offset:         16
        .size:           8
        .value_kind:     global_buffer
      - .actual_access:  write_only
        .address_space:  global
        .offset:         24
        .size:           8
        .value_kind:     global_buffer
      - .actual_access:  write_only
        .address_space:  global
        .offset:         32
        .size:           8
        .value_kind:     global_buffer
      - .actual_access:  read_only
        .address_space:  global
        .offset:         40
        .size:           8
        .value_kind:     global_buffer
      - .offset:         48
        .size:           4
        .value_kind:     by_value
      - .offset:         52
        .size:           4
        .value_kind:     by_value
      - .offset:         56
        .size:           4
        .value_kind:     by_value
      - .offset:         60
        .size:           4
        .value_kind:     by_value
      - .offset:         64
        .size:           4
        .value_kind:     by_value
      - .offset:         72
        .size:           4
        .value_kind:     hidden_block_count_x
      - .offset:         76
        .size:           4
        .value_kind:     hidden_block_count_y
      - .offset:         80
        .size:           4
        .value_kind:     hidden_block_count_z
      - .offset:         84
        .size:           2
        .value_kind:     hidden_group_size_x
      - .offset:         86
        .size:           2
        .value_kind:     hidden_group_size_y
      - .offset:         88
        .size:           2
        .value_kind:     hidden_group_size_z
      - .offset:         90
        .size:           2
        .value_kind:     hidden_remainder_x
      - .offset:         92
        .size:           2
        .value_kind:     hidden_remainder_y
      - .offset:         94
        .size:           2
        .value_kind:     hidden_remainder_z
      - .offset:         112
        .size:           8
        .value_kind:     hidden_global_offset_x
      - .offset:         120
        .size:           8
        .value_kind:     hidden_global_offset_y
      - .offset:         128
        .size:           8
        .value_kind:     hidden_global_offset_z
      - .offset:         136
        .size:           2
        .value_kind:     hidden_grid_dims
    .group_segment_fixed_size: 1728
    .kernarg_segment_align: 8
    .kernarg_segment_size: 328
    .language:       OpenCL C
    .language_version:
      - 2
      - 0
    .max_flat_workgroup_size: 1024
    .name:           _Z18run_check_neighborPKdPKbS0_PdPbPKjiiijj
    .private_segment_fixed_size: 0
    .sgpr_count:     22
    .sgpr_spill_count: 0
    .symbol:         _Z18run_check_neighborPKdPKbS0_PdPbPKjiiijj.kd
    .uniform_work_group_size: 1
    .uses_dynamic_stack: false
    .vgpr_count:     25
    .vgpr_spill_count: 0
    .wavefront_size: 32
    .workgroup_processor_mode: 1
amdhsa.target:   amdgcn-amd-amdhsa--gfx1100
amdhsa.version:
  - 1
  - 2
...

	.end_amdgpu_metadata
